;; amdgpu-corpus repo=ROCm/rocFFT kind=compiled arch=gfx906 opt=O3
	.text
	.amdgcn_target "amdgcn-amd-amdhsa--gfx906"
	.amdhsa_code_object_version 6
	.protected	fft_rtc_back_len121_factors_11_11_wgs_121_tpt_11_half_op_CI_CI_sbrc_xy_z_unaligned_dirReg ; -- Begin function fft_rtc_back_len121_factors_11_11_wgs_121_tpt_11_half_op_CI_CI_sbrc_xy_z_unaligned_dirReg
	.globl	fft_rtc_back_len121_factors_11_11_wgs_121_tpt_11_half_op_CI_CI_sbrc_xy_z_unaligned_dirReg
	.p2align	8
	.type	fft_rtc_back_len121_factors_11_11_wgs_121_tpt_11_half_op_CI_CI_sbrc_xy_z_unaligned_dirReg,@function
fft_rtc_back_len121_factors_11_11_wgs_121_tpt_11_half_op_CI_CI_sbrc_xy_z_unaligned_dirReg: ; @fft_rtc_back_len121_factors_11_11_wgs_121_tpt_11_half_op_CI_CI_sbrc_xy_z_unaligned_dirReg
; %bb.0:
	s_load_dwordx4 s[0:3], s[4:5], 0x10
	s_load_dwordx2 s[16:17], s[4:5], 0x20
	s_mov_b32 s7, 0
	s_mov_b32 s21, s7
	s_waitcnt lgkmcnt(0)
	s_load_dwordx4 s[8:11], s[0:1], 0x8
	s_load_dwordx4 s[12:15], s[2:3], 0x0
	s_load_dwordx2 s[18:19], s[2:3], 0x10
	s_waitcnt lgkmcnt(0)
	s_add_i32 s0, s10, -1
	s_mul_hi_u32 s0, s0, 0xba2e8ba3
	s_lshr_b32 s0, s0, 3
	s_add_i32 s0, s0, 1
	s_mul_i32 s0, s0, s8
	v_cvt_f32_u32_e32 v1, s0
	s_sub_i32 s1, 0, s0
	v_rcp_iflag_f32_e32 v1, v1
	v_mul_f32_e32 v1, 0x4f7ffffe, v1
	v_cvt_u32_f32_e32 v3, v1
	v_mov_b32_e32 v1, s8
	v_mov_b32_e32 v2, s9
	v_readfirstlane_b32 s11, v3
	s_mul_i32 s1, s1, s11
	s_mul_hi_u32 s1, s11, s1
	s_add_i32 s11, s11, s1
	s_mul_hi_u32 s1, s6, s11
	s_mul_i32 s11, s1, s0
	s_sub_i32 s11, s6, s11
	s_add_i32 s15, s1, 1
	s_sub_i32 s19, s11, s0
	s_cmp_ge_u32 s11, s0
	s_cselect_b32 s1, s15, s1
	s_cselect_b32 s11, s19, s11
	s_add_i32 s15, s1, 1
	s_cmp_ge_u32 s11, s0
	s_cselect_b32 s19, s15, s1
	s_mul_i32 s0, s19, s0
	s_sub_i32 s20, s6, s0
	v_cmp_lt_u64_e32 vcc, s[20:21], v[1:2]
	v_cvt_f32_u32_e32 v1, s8
	s_mov_b64 s[0:1], 0
	s_cbranch_vccnz .LBB0_2
; %bb.1:
	v_rcp_iflag_f32_e32 v2, v1
	s_sub_i32 s0, 0, s8
	v_mul_f32_e32 v2, 0x4f7ffffe, v2
	v_cvt_u32_f32_e32 v2, v2
	v_readfirstlane_b32 s1, v2
	s_mul_i32 s0, s0, s1
	s_mul_hi_u32 s0, s1, s0
	s_add_i32 s1, s1, s0
	s_mul_hi_u32 s0, s20, s1
	s_mul_i32 s11, s0, s8
	s_sub_i32 s11, s20, s11
	s_add_i32 s1, s0, 1
	s_sub_i32 s15, s11, s8
	s_cmp_ge_u32 s11, s8
	s_cselect_b32 s0, s1, s0
	s_cselect_b32 s11, s15, s11
	s_add_i32 s1, s0, 1
	s_cmp_ge_u32 s11, s8
	s_cselect_b32 s0, s1, s0
.LBB0_2:
	s_load_dwordx2 s[20:21], s[4:5], 0x58
	v_mov_b32_e32 v2, s8
	v_mov_b32_e32 v3, s9
	v_cmp_lt_u64_e32 vcc, s[6:7], v[2:3]
	s_cbranch_vccnz .LBB0_4
; %bb.3:
	v_rcp_iflag_f32_e32 v1, v1
	s_sub_i32 s1, 0, s8
	v_mul_f32_e32 v1, 0x4f7ffffe, v1
	v_cvt_u32_f32_e32 v1, v1
	v_readfirstlane_b32 s7, v1
	s_mul_i32 s1, s1, s7
	s_mul_hi_u32 s1, s7, s1
	s_add_i32 s7, s7, s1
	s_mul_hi_u32 s1, s6, s7
	s_mul_i32 s1, s1, s8
	s_sub_i32 s1, s6, s1
	s_sub_i32 s6, s1, s8
	s_cmp_ge_u32 s1, s8
	s_cselect_b32 s1, s6, s1
	s_sub_i32 s6, s1, s8
	s_cmp_ge_u32 s1, s8
	s_cselect_b32 s6, s6, s1
.LBB0_4:
	s_load_dwordx2 s[8:9], s[4:5], 0x8
	s_mul_i32 s28, s0, 11
	s_mul_i32 s1, s6, s14
	s_mul_i32 s0, s28, s18
	s_add_i32 s7, s1, s0
	s_waitcnt lgkmcnt(0)
	s_lshl_b64 s[14:15], s[8:9], 3
	s_add_u32 s22, s2, s14
	s_addc_u32 s23, s3, s15
	s_load_dwordx2 s[24:25], s[22:23], 0x0
	s_load_dwordx4 s[0:3], s[16:17], 0x0
	s_load_dwordx2 s[8:9], s[16:17], 0x10
	v_mul_u32_u24_e32 v1, 0x21e, v0
	v_lshrrev_b32_e32 v4, 16, v1
	s_waitcnt lgkmcnt(0)
	s_mul_i32 s3, s25, s19
	s_mul_hi_u32 s9, s24, s19
	s_mul_i32 s11, s24, s19
	s_add_i32 s9, s9, s3
	s_add_u32 s22, s11, s7
	s_addc_u32 s23, s9, 0
	s_add_u32 s14, s16, s14
	s_addc_u32 s15, s17, s15
	s_load_dwordx2 s[14:15], s[14:15], 0x0
	s_add_i32 s3, s28, 11
	s_cmp_le_u32 s3, s10
	s_cselect_b64 s[16:17], -1, 0
	v_mul_lo_u16_e32 v1, 0x79, v4
	v_sub_u16_e32 v3, v0, v1
	s_mov_b64 s[24:25], -1
	s_and_b64 vcc, exec, s[16:17]
	s_cbranch_vccnz .LBB0_9
; %bb.5:
	v_add_u32_e32 v5, s28, v4
	v_cmp_gt_u32_e32 vcc, s10, v5
	s_and_saveexec_b64 s[24:25], vcc
	s_cbranch_execz .LBB0_8
; %bb.6:
	v_mad_u64_u32 v[1:2], s[26:27], s12, v3, 0
	s_lshl_b64 s[26:27], s[22:23], 2
	s_add_u32 s3, s20, s26
	v_mad_u64_u32 v[6:7], s[30:31], s13, v3, v[2:3]
	s_addc_u32 s7, s21, s27
	v_mov_b32_e32 v7, s7
	v_mov_b32_e32 v2, v6
	v_lshlrev_b64 v[1:2], 2, v[1:2]
	v_lshlrev_b32_e32 v8, 2, v4
	v_add_co_u32_e32 v6, vcc, s3, v1
	v_mul_lo_u32 v1, v4, s18
	v_addc_co_u32_e32 v7, vcc, v7, v2, vcc
	v_mul_u32_u24_e32 v2, 44, v3
	s_mov_b32 s3, 0
	v_add3_u32 v8, v2, v8, 0
	s_mov_b64 s[26:27], 0
	v_mov_b32_e32 v2, 0
.LBB0_7:                                ; =>This Inner Loop Header: Depth=1
	v_lshlrev_b64 v[9:10], 2, v[1:2]
	s_add_i32 s3, s3, 1
	v_add_co_u32_e32 v9, vcc, v6, v9
	v_addc_co_u32_e32 v10, vcc, v7, v10, vcc
	global_load_dword v9, v[9:10], off
	v_add_u32_e32 v10, s3, v5
	v_cmp_le_u32_e32 vcc, s10, v10
	v_add_u32_e32 v1, s18, v1
	s_or_b64 s[26:27], vcc, s[26:27]
	s_waitcnt vmcnt(0)
	ds_write_b32 v8, v9
	v_add_u32_e32 v8, 4, v8
	s_andn2_b64 exec, exec, s[26:27]
	s_cbranch_execnz .LBB0_7
.LBB0_8:
	s_or_b64 exec, exec, s[24:25]
	s_mov_b64 s[24:25], 0
.LBB0_9:
	s_andn2_b64 vcc, exec, s[24:25]
	s_cbranch_vccnz .LBB0_11
; %bb.10:
	v_mad_u64_u32 v[1:2], s[24:25], s12, v3, 0
	v_mul_lo_u32 v5, s18, v4
	v_mov_b32_e32 v6, 0
	v_mad_u64_u32 v[7:8], s[12:13], s13, v3, v[2:3]
	s_lshl_b64 s[12:13], s[22:23], 2
	s_add_u32 s3, s20, s12
	v_mov_b32_e32 v2, v7
	v_lshlrev_b64 v[1:2], 2, v[1:2]
	s_addc_u32 s7, s21, s13
	v_mov_b32_e32 v7, s7
	v_add_co_u32_e32 v21, vcc, s3, v1
	v_addc_co_u32_e32 v22, vcc, v7, v2, vcc
	v_lshlrev_b64 v[1:2], 2, v[5:6]
	v_add_u32_e32 v5, s18, v5
	v_add_co_u32_e32 v1, vcc, v21, v1
	v_lshlrev_b64 v[7:8], 2, v[5:6]
	v_addc_co_u32_e32 v2, vcc, v22, v2, vcc
	v_add_u32_e32 v5, s18, v5
	v_add_co_u32_e32 v7, vcc, v21, v7
	v_lshlrev_b64 v[9:10], 2, v[5:6]
	v_addc_co_u32_e32 v8, vcc, v22, v8, vcc
	;; [unrolled: 4-line block ×7, first 2 shown]
	v_add_co_u32_e32 v19, vcc, v21, v19
	v_add_u32_e32 v5, s18, v5
	v_addc_co_u32_e32 v20, vcc, v22, v20, vcc
	global_load_dword v23, v[1:2], off
	global_load_dword v24, v[7:8], off
	;; [unrolled: 1-line block ×8, first 2 shown]
	v_lshlrev_b64 v[1:2], 2, v[5:6]
	v_add_u32_e32 v5, s18, v5
	v_add_co_u32_e32 v1, vcc, v21, v1
	v_lshlrev_b64 v[7:8], 2, v[5:6]
	v_addc_co_u32_e32 v2, vcc, v22, v2, vcc
	v_add_u32_e32 v5, s18, v5
	v_add_co_u32_e32 v7, vcc, v21, v7
	v_lshlrev_b64 v[5:6], 2, v[5:6]
	v_addc_co_u32_e32 v8, vcc, v22, v8, vcc
	v_add_co_u32_e32 v5, vcc, v21, v5
	v_addc_co_u32_e32 v6, vcc, v22, v6, vcc
	global_load_dword v9, v[1:2], off
	global_load_dword v10, v[7:8], off
	;; [unrolled: 1-line block ×3, first 2 shown]
	v_mul_u32_u24_e32 v1, 44, v3
	v_lshlrev_b32_e32 v2, 2, v4
	v_add3_u32 v1, 0, v1, v2
	s_waitcnt vmcnt(9)
	ds_write2_b32 v1, v23, v24 offset1:1
	s_waitcnt vmcnt(7)
	ds_write2_b32 v1, v25, v26 offset0:2 offset1:3
	s_waitcnt vmcnt(5)
	ds_write2_b32 v1, v27, v28 offset0:4 offset1:5
	;; [unrolled: 2-line block ×4, first 2 shown]
	s_waitcnt vmcnt(0)
	ds_write_b32 v1, v11 offset:40
.LBB0_11:
	s_mov_b32 s11, 0x1745d175
	s_movk_i32 s3, 0x1746
	v_mul_hi_u32 v4, v0, s11
	v_mul_u32_u24_sdwa v1, v0, s3 dst_sel:DWORD dst_unused:UNUSED_PAD src0_sel:WORD_0 src1_sel:DWORD
	v_mov_b32_e32 v2, 11
	v_mul_lo_u16_sdwa v1, v1, v2 dst_sel:DWORD dst_unused:UNUSED_PAD src0_sel:WORD_1 src1_sel:DWORD
	v_sub_u16_e32 v1, v0, v1
	v_mul_u32_u24_e32 v2, 44, v4
	v_lshlrev_b32_e32 v5, 2, v1
	v_add3_u32 v2, 0, v2, v5
	s_waitcnt lgkmcnt(0)
	s_barrier
	ds_read2_b32 v[9:10], v2 offset1:121
	v_add_u32_e32 v5, 0x200, v2
	ds_read2_b32 v[11:12], v5 offset0:114 offset1:235
	v_add_u32_e32 v6, 0x600, v2
	ds_read2_b32 v[13:14], v6 offset0:100 offset1:221
	;; [unrolled: 2-line block ×3, first 2 shown]
	s_waitcnt lgkmcnt(3)
	v_add_f16_e32 v19, v10, v9
	v_add_f16_sdwa v20, v10, v9 dst_sel:DWORD dst_unused:UNUSED_PAD src0_sel:WORD_1 src1_sel:WORD_1
	v_add_u32_e32 v8, 0xe00, v2
	s_waitcnt lgkmcnt(2)
	v_add_f16_e32 v19, v19, v11
	v_add_f16_sdwa v20, v20, v11 dst_sel:DWORD dst_unused:UNUSED_PAD src0_sel:DWORD src1_sel:WORD_1
	ds_read2_b32 v[17:18], v8 offset0:72 offset1:193
	v_add_f16_e32 v19, v19, v12
	v_add_f16_sdwa v20, v20, v12 dst_sel:DWORD dst_unused:UNUSED_PAD src0_sel:DWORD src1_sel:WORD_1
	ds_read_b32 v31, v2 offset:4840
	s_waitcnt lgkmcnt(3)
	v_add_f16_e32 v19, v19, v13
	v_add_f16_sdwa v20, v20, v13 dst_sel:DWORD dst_unused:UNUSED_PAD src0_sel:DWORD src1_sel:WORD_1
	v_add_f16_e32 v19, v19, v14
	v_add_f16_sdwa v20, v20, v14 dst_sel:DWORD dst_unused:UNUSED_PAD src0_sel:DWORD src1_sel:WORD_1
	s_waitcnt lgkmcnt(2)
	v_add_f16_e32 v19, v19, v15
	v_add_f16_sdwa v20, v20, v15 dst_sel:DWORD dst_unused:UNUSED_PAD src0_sel:DWORD src1_sel:WORD_1
	v_add_f16_e32 v19, v19, v16
	v_add_f16_sdwa v20, v20, v16 dst_sel:DWORD dst_unused:UNUSED_PAD src0_sel:DWORD src1_sel:WORD_1
	s_waitcnt lgkmcnt(1)
	v_add_f16_e32 v28, v17, v12
	v_add_f16_sdwa v29, v17, v12 dst_sel:DWORD dst_unused:UNUSED_PAD src0_sel:WORD_1 src1_sel:WORD_1
	v_sub_f16_e32 v30, v12, v17
	v_sub_f16_sdwa v12, v12, v17 dst_sel:DWORD dst_unused:UNUSED_PAD src0_sel:WORD_1 src1_sel:WORD_1
	v_add_f16_e32 v19, v19, v17
	v_add_f16_sdwa v17, v20, v17 dst_sel:DWORD dst_unused:UNUSED_PAD src0_sel:DWORD src1_sel:WORD_1
	s_waitcnt lgkmcnt(0)
	v_sub_f16_sdwa v20, v10, v31 dst_sel:DWORD dst_unused:UNUSED_PAD src0_sel:WORD_1 src1_sel:WORD_1
	v_add_f16_e32 v21, v18, v11
	v_add_f16_e32 v22, v16, v13
	v_add_f16_sdwa v23, v16, v13 dst_sel:DWORD dst_unused:UNUSED_PAD src0_sel:WORD_1 src1_sel:WORD_1
	v_sub_f16_e32 v24, v13, v16
	v_sub_f16_sdwa v13, v13, v16 dst_sel:DWORD dst_unused:UNUSED_PAD src0_sel:WORD_1 src1_sel:WORD_1
	v_add_f16_e32 v16, v15, v14
	v_add_f16_sdwa v25, v15, v14 dst_sel:DWORD dst_unused:UNUSED_PAD src0_sel:WORD_1 src1_sel:WORD_1
	v_sub_f16_e32 v26, v14, v15
	v_sub_f16_sdwa v14, v14, v15 dst_sel:DWORD dst_unused:UNUSED_PAD src0_sel:WORD_1 src1_sel:WORD_1
	v_add_f16_sdwa v15, v18, v11 dst_sel:DWORD dst_unused:UNUSED_PAD src0_sel:WORD_1 src1_sel:WORD_1
	v_sub_f16_e32 v27, v11, v18
	v_sub_f16_sdwa v11, v11, v18 dst_sel:DWORD dst_unused:UNUSED_PAD src0_sel:WORD_1 src1_sel:WORD_1
	v_add_f16_e32 v19, v19, v18
	v_add_f16_sdwa v17, v17, v18 dst_sel:DWORD dst_unused:UNUSED_PAD src0_sel:DWORD src1_sel:WORD_1
	s_movk_i32 s3, 0x3abb
	v_add_f16_e32 v18, v31, v10
	v_mul_f16_e32 v32, 0xb853, v20
	s_movk_i32 s9, 0x36a6
	v_mul_f16_e32 v34, 0xbb47, v20
	s_mov_b32 s18, 0xb08e
	v_mul_f16_e32 v36, 0xbbeb, v20
	s_mov_b32 s20, 0xb93d
	v_mul_f16_e32 v38, 0xba0c, v20
	v_mul_f16_e32 v20, 0xb482, v20
	s_mov_b32 s21, 0xbbad
	v_fma_f16 v33, v18, s3, v32
	v_fma_f16 v32, v18, s3, -v32
	v_fma_f16 v35, v18, s9, v34
	v_fma_f16 v34, v18, s9, -v34
	;; [unrolled: 2-line block ×5, first 2 shown]
	v_add_f16_sdwa v20, v31, v10 dst_sel:DWORD dst_unused:UNUSED_PAD src0_sel:WORD_1 src1_sel:WORD_1
	s_mov_b32 s24, 0xb853
	s_movk_i32 s23, 0x3853
	v_sub_f16_e32 v10, v10, v31
	v_mul_f16_e32 v41, 0x3abb, v20
	s_mov_b32 s22, 0xbb47
	s_movk_i32 s13, 0x3b47
	v_mul_f16_e32 v43, 0x36a6, v20
	s_mov_b32 s7, 0xbbeb
	s_movk_i32 s12, 0x3beb
	v_mul_f16_e32 v45, 0xb08e, v20
	s_mov_b32 s25, 0xba0c
	s_movk_i32 s26, 0x3a0c
	v_mul_f16_e32 v47, 0xb93d, v20
	s_mov_b32 s27, 0xb482
	v_mul_f16_e32 v20, 0xbbad, v20
	s_movk_i32 s29, 0x3482
	v_fma_f16 v42, v10, s23, v41
	v_fma_f16 v41, v10, s24, v41
	;; [unrolled: 1-line block ×10, first 2 shown]
	v_add_f16_e32 v20, v33, v9
	v_add_f16_sdwa v33, v42, v9 dst_sel:DWORD dst_unused:UNUSED_PAD src0_sel:DWORD src1_sel:WORD_1
	v_add_f16_e32 v32, v32, v9
	v_add_f16_sdwa v41, v41, v9 dst_sel:DWORD dst_unused:UNUSED_PAD src0_sel:DWORD src1_sel:WORD_1
	;; [unrolled: 2-line block ×10, first 2 shown]
	v_add_f16_e32 v10, v19, v31
	v_add_f16_sdwa v17, v17, v31 dst_sel:WORD_1 dst_unused:UNUSED_PAD src0_sel:DWORD src1_sel:WORD_1
	v_or_b32_e32 v10, v17, v10
	v_mul_f16_e32 v17, 0xbb47, v11
	v_fma_f16 v19, v21, s9, v17
	v_add_f16_e32 v19, v19, v20
	v_mul_f16_e32 v20, 0x36a6, v15
	v_fma_f16 v31, v27, s13, v20
	v_add_f16_e32 v31, v31, v33
	;; [unrolled: 3-line block ×8, first 2 shown]
	s_movk_i32 s30, 0x1b8
	v_pack_b32_f16 v19, v19, v31
	v_mad_u32_u24 v31, v4, s30, v2
	s_barrier
	ds_write2_b32 v31, v10, v19 offset1:11
	v_mul_f16_e32 v19, 0xba0c, v11
	v_fma_f16 v10, v21, s9, -v17
	v_fma_f16 v17, v27, s22, v20
	v_fma_f16 v20, v21, s20, v19
	v_fma_f16 v19, v21, s20, -v19
	v_add_f16_e32 v19, v19, v34
	v_mul_f16_e32 v34, 0x3482, v11
	v_add_f16_e32 v10, v10, v32
	v_add_f16_e32 v17, v17, v41
	v_mul_f16_e32 v32, 0xb93d, v15
	v_fma_f16 v41, v21, s21, v34
	v_add_f16_e32 v20, v20, v35
	v_fma_f16 v35, v27, s26, v32
	v_add_f16_e32 v37, v41, v37
	v_mul_f16_e32 v41, 0xbbad, v15
	v_fma_f16 v34, v21, s21, -v34
	v_add_f16_e32 v35, v35, v42
	v_fma_f16 v32, v27, s25, v32
	v_fma_f16 v42, v27, s27, v41
	v_add_f16_e32 v34, v34, v36
	v_fma_f16 v36, v27, s29, v41
	v_mul_f16_e32 v41, 0x3beb, v11
	v_add_f16_e32 v32, v32, v43
	v_fma_f16 v43, v21, s18, v41
	v_add_f16_e32 v39, v43, v39
	v_mul_f16_e32 v43, 0xb08e, v15
	v_fma_f16 v41, v21, s18, -v41
	v_mul_f16_e32 v11, 0x3853, v11
	v_add_f16_e32 v42, v42, v44
	v_fma_f16 v44, v27, s7, v43
	v_add_f16_e32 v38, v41, v38
	v_fma_f16 v41, v27, s12, v43
	v_fma_f16 v43, v21, s3, v11
	v_mul_f16_e32 v15, 0x3abb, v15
	v_add_f16_e32 v40, v43, v40
	v_fma_f16 v43, v27, s24, v15
	v_fma_f16 v15, v27, s23, v15
	v_add_f16_e32 v9, v15, v9
	v_fma_f16 v15, v28, s18, -v33
	v_add_f16_e32 v10, v15, v10
	v_fma_f16 v15, v30, s7, v49
	v_fma_f16 v11, v21, s3, -v11
	v_add_f16_e32 v15, v15, v17
	v_mul_f16_e32 v17, 0x3482, v12
	v_add_f16_e32 v11, v11, v18
	v_fma_f16 v18, v28, s21, v17
	v_add_f16_e32 v18, v18, v20
	v_mul_f16_e32 v20, 0xbbad, v29
	v_fma_f16 v17, v28, s21, -v17
	v_fma_f16 v21, v30, s27, v20
	v_add_f16_e32 v17, v17, v19
	v_fma_f16 v19, v30, s29, v20
	v_mul_f16_e32 v20, 0x3b47, v12
	v_fma_f16 v27, v28, s9, v20
	v_fma_f16 v20, v28, s9, -v20
	v_add_f16_e32 v19, v19, v32
	v_mul_f16_e32 v32, 0x36a6, v29
	v_add_f16_e32 v20, v20, v34
	v_mul_f16_e32 v34, 0xb853, v12
	v_add_f16_e32 v36, v36, v45
	v_add_f16_e32 v21, v21, v35
	v_fma_f16 v33, v30, s22, v32
	v_fma_f16 v32, v30, s13, v32
	;; [unrolled: 1-line block ×3, first 2 shown]
	v_fma_f16 v34, v28, s3, -v34
	v_mul_f16_e32 v12, 0xba0c, v12
	v_add_f16_e32 v32, v32, v36
	v_mul_f16_e32 v36, 0x3abb, v29
	v_add_f16_e32 v34, v34, v38
	v_fma_f16 v38, v28, s20, v12
	v_mul_f16_e32 v29, 0xb93d, v29
	v_fma_f16 v12, v28, s20, -v12
	v_add_f16_e32 v11, v12, v11
	v_fma_f16 v12, v30, s25, v29
	v_add_f16_e32 v9, v12, v9
	v_fma_f16 v12, v22, s20, -v50
	v_add_f16_e32 v10, v12, v10
	v_fma_f16 v12, v24, s25, v51
	v_add_f16_e32 v12, v12, v15
	v_mul_f16_e32 v15, 0x3beb, v13
	v_fma_f16 v28, v22, s18, v15
	v_add_f16_e32 v18, v28, v18
	v_mul_f16_e32 v28, 0xb08e, v23
	v_fma_f16 v15, v22, s18, -v15
	v_add_f16_e32 v15, v15, v17
	v_fma_f16 v17, v24, s12, v28
	v_add_f16_e32 v17, v17, v19
	v_mul_f16_e32 v19, 0xb853, v13
	v_add_f16_e32 v27, v27, v37
	v_add_f16_e32 v35, v35, v39
	v_fma_f16 v39, v30, s26, v29
	v_fma_f16 v29, v24, s7, v28
	;; [unrolled: 1-line block ×3, first 2 shown]
	v_add_f16_e32 v27, v28, v27
	v_mul_f16_e32 v28, 0x3abb, v23
	v_fma_f16 v19, v22, s3, -v19
	v_add_f16_e32 v21, v29, v21
	v_fma_f16 v29, v24, s23, v28
	v_add_f16_e32 v19, v19, v20
	v_fma_f16 v20, v24, s24, v28
	v_mul_f16_e32 v28, 0xb482, v13
	v_fma_f16 v37, v30, s23, v36
	v_fma_f16 v36, v30, s24, v36
	;; [unrolled: 1-line block ×3, first 2 shown]
	v_fma_f16 v28, v22, s21, -v28
	v_mul_f16_e32 v13, 0x3b47, v13
	v_add_f16_e32 v20, v20, v32
	v_mul_f16_e32 v32, 0xbbad, v23
	v_add_f16_e32 v28, v28, v34
	v_fma_f16 v34, v22, s9, v13
	v_mul_f16_e32 v23, 0x36a6, v23
	v_fma_f16 v13, v22, s9, -v13
	v_add_f16_e32 v11, v13, v11
	v_fma_f16 v13, v24, s13, v23
	v_add_f16_e32 v9, v13, v9
	v_fma_f16 v13, v16, s21, -v52
	v_add_f16_e32 v10, v13, v10
	v_fma_f16 v13, v26, s27, v53
	v_add_f16_e32 v12, v13, v12
	v_mul_f16_e32 v13, 0x3853, v14
	v_fma_f16 v22, v16, s3, v13
	v_add_f16_e32 v18, v22, v18
	v_mul_f16_e32 v22, 0x3abb, v25
	v_fma_f16 v13, v16, s3, -v13
	v_add_f16_e32 v13, v13, v15
	v_fma_f16 v15, v26, s23, v22
	v_add_f16_e32 v30, v30, v35
	v_fma_f16 v35, v24, s22, v23
	v_fma_f16 v23, v26, s24, v22
	v_add_f16_e32 v15, v15, v17
	v_mul_f16_e32 v17, 0xba0c, v14
	v_add_f16_e32 v21, v23, v21
	v_fma_f16 v22, v16, s20, v17
	v_mul_f16_e32 v23, 0xb93d, v25
	v_fma_f16 v17, v16, s20, -v17
	v_add_f16_e32 v17, v17, v19
	v_fma_f16 v19, v26, s25, v23
	v_add_f16_e32 v33, v33, v42
	v_add_f16_e32 v19, v19, v20
	v_mul_f16_e32 v20, 0x3b47, v14
	v_add_f16_e32 v41, v41, v47
	v_add_f16_e32 v29, v29, v33
	v_fma_f16 v33, v24, s29, v32
	v_fma_f16 v32, v24, s27, v32
	;; [unrolled: 1-line block ×4, first 2 shown]
	v_fma_f16 v20, v16, s9, -v20
	v_mul_f16_e32 v14, 0xbbeb, v14
	v_add_f16_e32 v36, v36, v41
	v_add_f16_e32 v22, v22, v27
	v_mul_f16_e32 v27, 0x36a6, v25
	v_add_f16_e32 v20, v20, v28
	v_fma_f16 v28, v16, s18, v14
	v_mul_f16_e32 v25, 0xb08e, v25
	v_fma_f16 v14, v16, s18, -v14
	v_add_f16_e32 v32, v32, v36
	v_add_f16_e32 v24, v24, v29
	v_fma_f16 v29, v26, s22, v27
	v_fma_f16 v27, v26, s13, v27
	v_add_f16_e32 v11, v14, v11
	v_fma_f16 v14, v26, s7, v25
	v_add_f16_e32 v27, v27, v32
	v_add_f16_e32 v9, v14, v9
	v_pack_b32_f16 v9, v11, v9
	v_pack_b32_f16 v11, v20, v27
	v_add_f16_e32 v44, v44, v46
	v_add_f16_e32 v43, v43, v48
	ds_write2_b32 v31, v9, v11 offset0:66 offset1:77
	v_pack_b32_f16 v9, v17, v19
	v_pack_b32_f16 v11, v13, v15
	v_add_f16_e32 v37, v37, v44
	v_add_f16_e32 v38, v38, v40
	;; [unrolled: 1-line block ×3, first 2 shown]
	ds_write2_b32 v31, v9, v11 offset0:88 offset1:99
	v_pack_b32_f16 v9, v10, v12
	v_add_f16_e32 v33, v33, v37
	v_add_f16_e32 v34, v34, v38
	;; [unrolled: 1-line block ×4, first 2 shown]
	v_fma_f16 v30, v26, s12, v25
	ds_write_b32 v31, v9 offset:440
	v_add_u32_e32 v9, s28, v1
	v_add_f16_e32 v29, v29, v33
	v_add_f16_e32 v28, v28, v34
	v_add_f16_e32 v30, v30, v35
	v_pack_b32_f16 v14, v18, v21
	v_pack_b32_f16 v16, v22, v24
	v_cmp_gt_u32_e32 vcc, s10, v9
	s_mov_b32 s7, 0
	ds_write2_b32 v31, v14, v16 offset0:22 offset1:33
	v_pack_b32_f16 v14, v23, v29
	v_pack_b32_f16 v16, v28, v30
	s_or_b64 s[12:13], s[16:17], vcc
	ds_write2_b32 v31, v14, v16 offset0:44 offset1:55
	s_waitcnt lgkmcnt(0)
	s_barrier
	s_and_saveexec_b64 s[16:17], s[12:13]
	s_cbranch_execz .LBB0_13
; %bb.12:
	v_mul_hi_u32 v9, v4, s11
	s_load_dwordx2 s[10:11], s[4:5], 0x0
	s_load_dwordx2 s[12:13], s[4:5], 0x60
	s_mul_i32 s6, s6, s8
	s_mul_i32 s8, s15, s19
	v_mul_u32_u24_e32 v9, 11, v9
	v_sub_u32_e32 v25, v4, v9
	v_mul_u32_u24_e32 v4, 10, v25
	v_lshlrev_b32_e32 v4, 2, v4
	s_waitcnt lgkmcnt(0)
	global_load_dwordx4 v[9:12], v4, s[10:11] offset:16
	global_load_dwordx4 v[13:16], v4, s[10:11]
	global_load_dwordx2 v[17:18], v4, s[10:11] offset:32
	ds_read2_b32 v[19:20], v6 offset0:100 offset1:221
	ds_read2_b32 v[6:7], v7 offset0:86 offset1:207
	;; [unrolled: 1-line block ×4, first 2 shown]
	ds_read2_b32 v[23:24], v2 offset1:121
	ds_read_b32 v2, v2 offset:4840
	s_waitcnt lgkmcnt(5)
	v_lshrrev_b32_e32 v8, 16, v20
	s_waitcnt lgkmcnt(4)
	v_lshrrev_b32_e32 v26, 16, v6
	v_lshrrev_b32_e32 v27, 16, v19
	s_waitcnt lgkmcnt(2)
	v_lshrrev_b32_e32 v30, 16, v21
	;; [unrolled: 3-line block ×3, first 2 shown]
	s_waitcnt lgkmcnt(0)
	v_lshrrev_b32_e32 v34, 16, v2
	v_lshrrev_b32_e32 v31, 16, v4
	;; [unrolled: 1-line block ×4, first 2 shown]
	s_mul_hi_u32 s10, s14, s19
	s_add_i32 s11, s10, s8
	s_mul_i32 s4, s1, s28
	s_mul_hi_u32 s5, s0, s28
	s_add_i32 s5, s5, s4
	s_mul_i32 s4, s0, s28
	v_sub_u32_e32 v0, v0, v3
	s_mul_i32 s10, s14, s19
	v_add_u32_e32 v0, v0, v25
	v_mul_lo_u32 v0, v0, s2
	s_waitcnt vmcnt(2)
	v_mul_f16_sdwa v35, v8, v9 dst_sel:DWORD dst_unused:UNUSED_PAD src0_sel:DWORD src1_sel:WORD_1
	v_mul_f16_sdwa v36, v26, v10 dst_sel:DWORD dst_unused:UNUSED_PAD src0_sel:DWORD src1_sel:WORD_1
	v_mul_f16_sdwa v37, v9, v20 dst_sel:DWORD dst_unused:UNUSED_PAD src0_sel:WORD_1 src1_sel:DWORD
	v_mul_f16_sdwa v38, v6, v10 dst_sel:DWORD dst_unused:UNUSED_PAD src0_sel:DWORD src1_sel:WORD_1
	s_waitcnt vmcnt(1)
	v_mul_f16_sdwa v39, v16, v27 dst_sel:DWORD dst_unused:UNUSED_PAD src0_sel:WORD_1 src1_sel:DWORD
	v_mul_f16_sdwa v44, v30, v12 dst_sel:DWORD dst_unused:UNUSED_PAD src0_sel:DWORD src1_sel:WORD_1
	s_waitcnt vmcnt(0)
	v_mul_f16_sdwa v48, v32, v17 dst_sel:DWORD dst_unused:UNUSED_PAD src0_sel:DWORD src1_sel:WORD_1
	v_mul_f16_sdwa v51, v13, v33 dst_sel:DWORD dst_unused:UNUSED_PAD src0_sel:WORD_1 src1_sel:DWORD
	v_mul_f16_sdwa v52, v34, v18 dst_sel:DWORD dst_unused:UNUSED_PAD src0_sel:DWORD src1_sel:WORD_1
	v_mul_f16_sdwa v41, v16, v19 dst_sel:DWORD dst_unused:UNUSED_PAD src0_sel:WORD_1 src1_sel:DWORD
	v_mul_f16_sdwa v46, v21, v12 dst_sel:DWORD dst_unused:UNUSED_PAD src0_sel:DWORD src1_sel:WORD_1
	v_mul_f16_sdwa v47, v14, v31 dst_sel:DWORD dst_unused:UNUSED_PAD src0_sel:WORD_1 src1_sel:DWORD
	v_mul_f16_sdwa v50, v22, v17 dst_sel:DWORD dst_unused:UNUSED_PAD src0_sel:DWORD src1_sel:WORD_1
	v_mul_f16_sdwa v53, v13, v24 dst_sel:DWORD dst_unused:UNUSED_PAD src0_sel:WORD_1 src1_sel:DWORD
	v_mul_f16_sdwa v54, v2, v18 dst_sel:DWORD dst_unused:UNUSED_PAD src0_sel:DWORD src1_sel:WORD_1
	v_fma_f16 v8, v8, v9, -v37
	v_fma_f16 v26, v26, v10, -v38
	v_fma_f16 v9, v9, v20, v35
	v_fma_f16 v6, v6, v10, v36
	;; [unrolled: 1-line block ×7, first 2 shown]
	v_mul_f16_sdwa v43, v15, v29 dst_sel:DWORD dst_unused:UNUSED_PAD src0_sel:WORD_1 src1_sel:DWORD
	v_mul_f16_sdwa v49, v14, v4 dst_sel:DWORD dst_unused:UNUSED_PAD src0_sel:WORD_1 src1_sel:DWORD
	v_fma_f16 v4, v14, v4, v47
	v_fma_f16 v2, v13, v33, -v53
	v_fma_f16 v13, v34, v18, -v54
	v_sub_f16_e32 v33, v21, v22
	v_mul_f16_sdwa v40, v28, v11 dst_sel:DWORD dst_unused:UNUSED_PAD src0_sel:DWORD src1_sel:WORD_1
	v_mul_f16_sdwa v45, v15, v5 dst_sel:DWORD dst_unused:UNUSED_PAD src0_sel:WORD_1 src1_sel:DWORD
	v_fma_f16 v5, v15, v5, v43
	v_fma_f16 v14, v14, v31, -v49
	v_fma_f16 v17, v32, v17, -v50
	v_sub_f16_e32 v31, v4, v20
	v_add_f16_e32 v34, v2, v13
	v_mul_f16_e32 v44, 0xb482, v33
	v_mul_f16_sdwa v42, v7, v11 dst_sel:DWORD dst_unused:UNUSED_PAD src0_sel:DWORD src1_sel:WORD_1
	v_fma_f16 v7, v7, v11, v40
	v_fma_f16 v15, v15, v29, -v45
	v_fma_f16 v12, v30, v12, -v46
	v_sub_f16_e32 v29, v5, v19
	v_add_f16_e32 v32, v14, v17
	v_mul_f16_e32 v43, 0x3853, v31
	v_fma_f16 v51, v34, s21, v44
	v_fma_f16 v16, v16, v27, -v41
	v_fma_f16 v11, v28, v11, -v42
	v_sub_f16_e32 v27, v10, v7
	v_add_f16_e32 v30, v15, v12
	v_mul_f16_e32 v42, 0xba0c, v29
	v_fma_f16 v50, v32, s3, v43
	v_add_f16_sdwa v51, v51, v23 dst_sel:DWORD dst_unused:UNUSED_PAD src0_sel:DWORD src1_sel:WORD_1
	v_sub_f16_e32 v18, v9, v6
	v_add_f16_e32 v28, v16, v11
	v_mul_f16_e32 v41, 0x3b47, v27
	v_fma_f16 v49, v30, s20, v42
	v_add_f16_e32 v50, v50, v51
	v_add_f16_e32 v24, v8, v26
	v_mul_f16_e32 v40, 0xbbeb, v18
	v_fma_f16 v48, v28, s9, v41
	v_add_f16_e32 v49, v49, v50
	v_fma_f16 v47, v24, s18, v40
	v_add_f16_e32 v48, v48, v49
	v_add_f16_e32 v47, v47, v48
	v_sub_f16_e32 v48, v2, v13
	v_fma_f16 v44, v34, s21, -v44
	v_sub_f16_e32 v38, v14, v17
	v_add_f16_e32 v39, v21, v22
	v_mul_f16_e32 v49, 0xb482, v48
	v_fma_f16 v43, v32, s3, -v43
	v_add_f16_sdwa v44, v44, v23 dst_sel:DWORD dst_unused:UNUSED_PAD src0_sel:DWORD src1_sel:WORD_1
	v_sub_f16_e32 v36, v15, v12
	v_add_f16_e32 v37, v4, v20
	v_mul_f16_e32 v46, 0x3853, v38
	v_fma_f16 v50, v39, s21, -v49
	v_add_f16_e32 v43, v43, v44
	v_fma_f16 v42, v30, s20, -v42
	v_add_f16_e32 v35, v5, v19
	v_mul_f16_e32 v45, 0xba0c, v36
	v_fma_f16 v51, v37, s3, -v46
	v_add_f16_e32 v50, v50, v23
	v_add_f16_e32 v42, v42, v43
	v_fma_f16 v41, v28, s9, -v41
	v_add_f16_e32 v50, v51, v50
	v_fma_f16 v51, v35, s20, -v45
	v_sub_f16_e32 v52, v16, v11
	v_add_f16_e32 v41, v41, v42
	v_fma_f16 v40, v24, s18, -v40
	v_fma_f16 v42, v39, s21, v49
	v_add_f16_e32 v50, v51, v50
	v_add_f16_e32 v51, v10, v7
	v_mul_f16_e32 v53, 0x3b47, v52
	v_add_f16_e32 v40, v40, v41
	v_fma_f16 v41, v37, s3, v46
	v_add_f16_e32 v42, v42, v23
	v_fma_f16 v54, v51, s9, -v53
	v_sub_f16_e32 v55, v8, v26
	v_add_f16_e32 v41, v41, v42
	v_fma_f16 v44, v35, s20, v45
	v_add_f16_e32 v50, v54, v50
	v_add_f16_e32 v54, v9, v6
	v_mul_f16_e32 v56, 0xbbeb, v55
	v_fma_f16 v43, v51, s9, v53
	v_add_f16_e32 v41, v44, v41
	v_fma_f16 v42, v54, s18, v56
	v_add_f16_e32 v41, v43, v41
	v_mul_f16_e32 v43, 0xba0c, v33
	v_add_f16_e32 v41, v42, v41
	v_mul_f16_e32 v42, 0x3beb, v31
	v_fma_f16 v44, v34, s20, v43
	v_add_f16_sdwa v44, v44, v23 dst_sel:DWORD dst_unused:UNUSED_PAD src0_sel:DWORD src1_sel:WORD_1
	v_fma_f16 v45, v32, s18, v42
	v_add_f16_e32 v44, v45, v44
	v_mul_f16_e32 v45, 0xb853, v29
	v_fma_f16 v46, v30, s3, v45
	v_add_f16_e32 v44, v46, v44
	v_mul_f16_e32 v46, 0xb482, v27
	;; [unrolled: 3-line block ×3, first 2 shown]
	v_fma_f16 v53, v24, s9, v49
	v_fma_f16 v57, v54, s18, -v56
	v_add_f16_e32 v44, v53, v44
	v_mul_f16_e32 v53, 0xba0c, v48
	v_fma_f16 v43, v34, s20, -v43
	v_add_f16_e32 v50, v57, v50
	v_fma_f16 v56, v39, s20, -v53
	v_mul_f16_e32 v57, 0x3beb, v38
	v_fma_f16 v42, v32, s18, -v42
	v_add_f16_sdwa v43, v43, v23 dst_sel:DWORD dst_unused:UNUSED_PAD src0_sel:DWORD src1_sel:WORD_1
	v_add_f16_e32 v56, v56, v23
	v_fma_f16 v58, v37, s18, -v57
	v_add_f16_e32 v42, v42, v43
	v_fma_f16 v43, v30, s3, -v45
	v_add_f16_e32 v56, v58, v56
	v_mul_f16_e32 v58, 0xb853, v36
	v_add_f16_e32 v42, v43, v42
	v_fma_f16 v43, v28, s21, -v46
	v_fma_f16 v59, v35, s3, -v58
	v_add_f16_e32 v42, v43, v42
	v_fma_f16 v43, v24, s9, -v49
	v_fma_f16 v45, v39, s20, v53
	v_add_f16_e32 v56, v59, v56
	v_mul_f16_e32 v59, 0xb482, v52
	v_add_f16_e32 v42, v43, v42
	v_fma_f16 v43, v37, s18, v57
	v_add_f16_e32 v45, v45, v23
	v_fma_f16 v60, v51, s21, -v59
	v_add_f16_e32 v43, v43, v45
	v_fma_f16 v45, v35, s3, v58
	v_add_f16_e32 v56, v60, v56
	v_mul_f16_e32 v60, 0x3b47, v55
	v_add_f16_e32 v43, v45, v43
	v_fma_f16 v45, v51, s21, v59
	v_add_f16_e32 v43, v45, v43
	v_fma_f16 v45, v54, s9, v60
	v_add_f16_e32 v43, v45, v43
	v_mul_f16_e32 v45, 0xbbeb, v33
	v_fma_f16 v46, v34, s18, v45
	v_mul_f16_e32 v49, 0x3482, v31
	v_add_f16_sdwa v46, v46, v23 dst_sel:DWORD dst_unused:UNUSED_PAD src0_sel:DWORD src1_sel:WORD_1
	v_fma_f16 v53, v32, s21, v49
	v_add_f16_e32 v46, v53, v46
	v_mul_f16_e32 v53, 0x3b47, v29
	v_fma_f16 v57, v30, s9, v53
	v_add_f16_e32 v46, v57, v46
	v_mul_f16_e32 v57, 0xb853, v27
	;; [unrolled: 3-line block ×3, first 2 shown]
	v_fma_f16 v59, v24, s20, v58
	v_fma_f16 v61, v54, s9, -v60
	v_add_f16_e32 v46, v59, v46
	v_mul_f16_e32 v59, 0xbbeb, v48
	v_fma_f16 v45, v34, s18, -v45
	v_add_f16_e32 v56, v61, v56
	v_fma_f16 v60, v39, s18, -v59
	v_mul_f16_e32 v61, 0x3482, v38
	v_fma_f16 v49, v32, s21, -v49
	v_add_f16_sdwa v45, v45, v23 dst_sel:DWORD dst_unused:UNUSED_PAD src0_sel:DWORD src1_sel:WORD_1
	v_add_f16_e32 v60, v60, v23
	v_fma_f16 v62, v37, s21, -v61
	v_add_f16_e32 v45, v49, v45
	v_fma_f16 v49, v30, s9, -v53
	v_add_f16_e32 v60, v62, v60
	v_mul_f16_e32 v62, 0x3b47, v36
	v_add_f16_e32 v45, v49, v45
	v_fma_f16 v49, v28, s3, -v57
	v_fma_f16 v63, v35, s9, -v62
	v_add_f16_e32 v45, v49, v45
	v_fma_f16 v49, v24, s20, -v58
	v_fma_f16 v53, v39, s18, v59
	v_add_f16_e32 v60, v63, v60
	v_mul_f16_e32 v63, 0xb853, v52
	v_add_f16_e32 v45, v49, v45
	v_fma_f16 v49, v37, s21, v61
	v_add_f16_e32 v53, v53, v23
	v_fma_f16 v64, v51, s3, -v63
	v_add_f16_e32 v49, v49, v53
	v_fma_f16 v53, v35, s9, v62
	v_add_f16_e32 v60, v64, v60
	v_mul_f16_e32 v64, 0xba0c, v55
	v_add_f16_e32 v49, v53, v49
	v_fma_f16 v53, v51, s3, v63
	v_add_f16_e32 v49, v53, v49
	v_fma_f16 v53, v54, s20, v64
	v_add_f16_e32 v49, v53, v49
	v_mul_f16_e32 v53, 0xbb47, v33
	v_fma_f16 v57, v34, s9, v53
	v_mul_f16_e32 v58, 0xba0c, v31
	v_add_f16_sdwa v57, v57, v23 dst_sel:DWORD dst_unused:UNUSED_PAD src0_sel:DWORD src1_sel:WORD_1
	v_fma_f16 v59, v32, s20, v58
	v_add_f16_e32 v57, v59, v57
	v_mul_f16_e32 v59, 0x3482, v29
	v_fma_f16 v61, v30, s21, v59
	v_add_f16_e32 v57, v61, v57
	v_mul_f16_e32 v61, 0x3beb, v27
	;; [unrolled: 3-line block ×3, first 2 shown]
	v_fma_f16 v63, v24, s3, v62
	v_fma_f16 v65, v54, s20, -v64
	v_add_f16_e32 v57, v63, v57
	v_mul_f16_e32 v63, 0xbb47, v48
	v_fma_f16 v53, v34, s9, -v53
	v_add_f16_e32 v60, v65, v60
	v_fma_f16 v64, v39, s9, -v63
	v_mul_f16_e32 v65, 0xba0c, v38
	v_fma_f16 v58, v32, s20, -v58
	v_add_f16_sdwa v53, v53, v23 dst_sel:DWORD dst_unused:UNUSED_PAD src0_sel:DWORD src1_sel:WORD_1
	v_add_f16_e32 v64, v64, v23
	v_fma_f16 v66, v37, s20, -v65
	v_add_f16_e32 v53, v58, v53
	v_fma_f16 v58, v30, s21, -v59
	v_add_f16_e32 v64, v66, v64
	v_mul_f16_e32 v66, 0x3482, v36
	v_add_f16_e32 v53, v58, v53
	v_fma_f16 v58, v28, s18, -v61
	v_add_f16_sdwa v2, v2, v23 dst_sel:DWORD dst_unused:UNUSED_PAD src0_sel:DWORD src1_sel:WORD_1
	v_fma_f16 v67, v35, s21, -v66
	v_add_f16_e32 v53, v58, v53
	v_fma_f16 v58, v24, s3, -v62
	v_fma_f16 v59, v39, s9, v63
	v_add_f16_e32 v2, v2, v14
	v_add_f16_e32 v64, v67, v64
	v_mul_f16_e32 v67, 0x3beb, v52
	v_add_f16_e32 v53, v58, v53
	v_fma_f16 v58, v37, s20, v65
	v_add_f16_e32 v59, v59, v23
	v_add_f16_e32 v2, v2, v15
	v_fma_f16 v68, v51, s18, -v67
	v_add_f16_e32 v58, v58, v59
	v_fma_f16 v59, v35, s21, v66
	v_add_f16_e32 v2, v2, v16
	v_add_f16_e32 v64, v68, v64
	v_mul_f16_e32 v68, 0x3853, v55
	v_add_f16_e32 v58, v59, v58
	v_fma_f16 v59, v51, s18, v67
	v_add_f16_e32 v2, v2, v8
	v_add_f16_e32 v58, v59, v58
	v_fma_f16 v59, v54, s3, v68
	v_mul_f16_e32 v33, 0xb853, v33
	v_add_f16_e32 v2, v2, v26
	v_add_f16_e32 v58, v59, v58
	v_mul_f16_e32 v31, 0xbb47, v31
	v_fma_f16 v59, v34, s3, v33
	v_add_f16_e32 v2, v2, v11
	v_add_f16_sdwa v59, v59, v23 dst_sel:DWORD dst_unused:UNUSED_PAD src0_sel:DWORD src1_sel:WORD_1
	v_fma_f16 v61, v32, s9, v31
	v_mul_f16_e32 v29, 0xbbeb, v29
	v_add_f16_e32 v2, v2, v12
	v_add_f16_e32 v59, v61, v59
	v_fma_f16 v61, v30, s18, v29
	v_mul_f16_e32 v27, 0xba0c, v27
	v_add_f16_e32 v2, v2, v17
	v_add_f16_e32 v59, v61, v59
	v_fma_f16 v61, v28, s20, v27
	v_mul_f16_e32 v18, 0xb482, v18
	v_add_f16_sdwa v8, v2, v13 dst_sel:WORD_1 dst_unused:UNUSED_PAD src0_sel:DWORD src1_sel:DWORD
	v_add_f16_e32 v2, v21, v23
	v_add_f16_e32 v59, v61, v59
	v_fma_f16 v61, v24, s21, v18
	v_fma_f16 v18, v24, s21, -v18
	v_fma_f16 v24, v28, s20, -v27
	;; [unrolled: 1-line block ×4, first 2 shown]
	v_add_f16_e32 v2, v2, v4
	v_mul_f16_e32 v38, 0xbb47, v38
	v_fma_f16 v28, v32, s9, -v31
	v_add_f16_sdwa v29, v29, v23 dst_sel:DWORD dst_unused:UNUSED_PAD src0_sel:DWORD src1_sel:WORD_1
	v_add_f16_e32 v2, v2, v5
	v_fma_f16 v62, v37, s9, -v38
	v_add_f16_e32 v28, v28, v29
	v_fma_f16 v29, v37, s9, v38
	v_add_f16_e32 v2, v2, v10
	v_mad_u64_u32 v[4:5], s[8:9], s0, v1, 0
	v_add_f16_e32 v2, v2, v9
	v_add_f16_e32 v2, v2, v6
	;; [unrolled: 1-line block ×4, first 2 shown]
	v_mov_b32_e32 v2, v5
	v_mad_u64_u32 v[1:2], s[0:1], s1, v1, v[2:3]
	v_mul_f16_e32 v48, 0xb853, v48
	s_lshl_b64 s[0:1], s[4:5], 2
	v_fma_f16 v69, v54, s3, -v68
	v_add_f16_e32 v59, v61, v59
	v_fma_f16 v61, v39, s3, -v48
	v_fma_f16 v30, v39, s3, v48
	s_add_u32 s3, s12, s0
	s_addc_u32 s4, s13, s1
	s_lshl_b64 s[0:1], s[6:7], 2
	v_add_f16_e32 v2, v6, v20
	s_add_u32 s3, s3, s0
	v_add_f16_e32 v2, v2, v22
	v_mov_b32_e32 v5, v1
	s_addc_u32 s4, s4, s1
	s_lshl_b64 s[0:1], s[10:11], 2
	v_or_b32_e32 v6, v8, v2
	s_add_u32 s0, s3, s0
	v_lshlrev_b64 v[2:3], 2, v[4:5]
	s_addc_u32 s1, s4, s1
	v_mov_b32_e32 v1, 0
	v_mov_b32_e32 v4, s1
	v_add_co_u32_e32 v5, vcc, s0, v2
	v_addc_co_u32_e32 v4, vcc, v4, v3, vcc
	v_lshlrev_b64 v[2:3], 2, v[0:1]
	v_mul_f16_e32 v36, 0xbbeb, v36
	v_add_f16_e32 v30, v30, v23
	v_add_co_u32_e32 v2, vcc, v5, v2
	s_mul_i32 s0, s2, 11
	v_mul_f16_e32 v52, 0xba0c, v52
	v_add_f16_e32 v27, v27, v28
	v_fma_f16 v28, v35, s18, v36
	v_add_f16_e32 v29, v29, v30
	v_addc_co_u32_e32 v3, vcc, v4, v3, vcc
	v_add_u32_e32 v0, s0, v0
	v_mul_f16_e32 v55, 0xb482, v55
	v_add_f16_e32 v24, v24, v27
	v_fma_f16 v27, v51, s20, v52
	v_add_f16_e32 v28, v28, v29
	global_store_dword v[2:3], v6, off
	v_lshlrev_b64 v[2:3], 2, v[0:1]
	v_add_f16_e32 v18, v18, v24
	v_fma_f16 v24, v54, s21, v55
	v_add_f16_e32 v27, v27, v28
	v_add_f16_e32 v24, v24, v27
	v_add_co_u32_e32 v2, vcc, v5, v2
	v_addc_co_u32_e32 v3, vcc, v4, v3, vcc
	v_pack_b32_f16 v6, v24, v18
	v_add_u32_e32 v0, s0, v0
	global_store_dword v[2:3], v6, off
	v_lshlrev_b64 v[2:3], 2, v[0:1]
	v_pack_b32_f16 v6, v58, v53
	v_add_co_u32_e32 v2, vcc, v5, v2
	v_addc_co_u32_e32 v3, vcc, v4, v3, vcc
	v_add_u32_e32 v0, s0, v0
	global_store_dword v[2:3], v6, off
	v_lshlrev_b64 v[2:3], 2, v[0:1]
	v_pack_b32_f16 v6, v49, v45
	v_add_co_u32_e32 v2, vcc, v5, v2
	v_addc_co_u32_e32 v3, vcc, v4, v3, vcc
	;; [unrolled: 6-line block ×7, first 2 shown]
	v_add_u32_e32 v0, s0, v0
	v_add_f16_e32 v61, v61, v23
	global_store_dword v[2:3], v6, off
	v_lshlrev_b64 v[2:3], 2, v[0:1]
	v_add_f16_e32 v61, v62, v61
	v_fma_f16 v62, v35, s18, -v36
	v_add_u32_e32 v0, s0, v0
	v_add_f16_e32 v61, v62, v61
	v_fma_f16 v62, v51, s20, -v52
	v_add_co_u32_e32 v2, vcc, v5, v2
	v_lshlrev_b64 v[0:1], 2, v[0:1]
	v_add_f16_e32 v64, v69, v64
	v_add_f16_e32 v61, v62, v61
	v_fma_f16 v62, v54, s21, -v55
	v_addc_co_u32_e32 v3, vcc, v4, v3, vcc
	v_add_f16_e32 v61, v62, v61
	v_pack_b32_f16 v6, v64, v57
	v_add_co_u32_e32 v0, vcc, v5, v0
	global_store_dword v[2:3], v6, off
	v_addc_co_u32_e32 v1, vcc, v4, v1, vcc
	v_pack_b32_f16 v2, v61, v59
	global_store_dword v[0:1], v2, off
.LBB0_13:
	s_endpgm
	.section	.rodata,"a",@progbits
	.p2align	6, 0x0
	.amdhsa_kernel fft_rtc_back_len121_factors_11_11_wgs_121_tpt_11_half_op_CI_CI_sbrc_xy_z_unaligned_dirReg
		.amdhsa_group_segment_fixed_size 0
		.amdhsa_private_segment_fixed_size 0
		.amdhsa_kernarg_size 104
		.amdhsa_user_sgpr_count 6
		.amdhsa_user_sgpr_private_segment_buffer 1
		.amdhsa_user_sgpr_dispatch_ptr 0
		.amdhsa_user_sgpr_queue_ptr 0
		.amdhsa_user_sgpr_kernarg_segment_ptr 1
		.amdhsa_user_sgpr_dispatch_id 0
		.amdhsa_user_sgpr_flat_scratch_init 0
		.amdhsa_user_sgpr_private_segment_size 0
		.amdhsa_uses_dynamic_stack 0
		.amdhsa_system_sgpr_private_segment_wavefront_offset 0
		.amdhsa_system_sgpr_workgroup_id_x 1
		.amdhsa_system_sgpr_workgroup_id_y 0
		.amdhsa_system_sgpr_workgroup_id_z 0
		.amdhsa_system_sgpr_workgroup_info 0
		.amdhsa_system_vgpr_workitem_id 0
		.amdhsa_next_free_vgpr 70
		.amdhsa_next_free_sgpr 32
		.amdhsa_reserve_vcc 1
		.amdhsa_reserve_flat_scratch 0
		.amdhsa_float_round_mode_32 0
		.amdhsa_float_round_mode_16_64 0
		.amdhsa_float_denorm_mode_32 3
		.amdhsa_float_denorm_mode_16_64 3
		.amdhsa_dx10_clamp 1
		.amdhsa_ieee_mode 1
		.amdhsa_fp16_overflow 0
		.amdhsa_exception_fp_ieee_invalid_op 0
		.amdhsa_exception_fp_denorm_src 0
		.amdhsa_exception_fp_ieee_div_zero 0
		.amdhsa_exception_fp_ieee_overflow 0
		.amdhsa_exception_fp_ieee_underflow 0
		.amdhsa_exception_fp_ieee_inexact 0
		.amdhsa_exception_int_div_zero 0
	.end_amdhsa_kernel
	.text
.Lfunc_end0:
	.size	fft_rtc_back_len121_factors_11_11_wgs_121_tpt_11_half_op_CI_CI_sbrc_xy_z_unaligned_dirReg, .Lfunc_end0-fft_rtc_back_len121_factors_11_11_wgs_121_tpt_11_half_op_CI_CI_sbrc_xy_z_unaligned_dirReg
                                        ; -- End function
	.section	.AMDGPU.csdata,"",@progbits
; Kernel info:
; codeLenInByte = 6344
; NumSgprs: 36
; NumVgprs: 70
; ScratchSize: 0
; MemoryBound: 0
; FloatMode: 240
; IeeeMode: 1
; LDSByteSize: 0 bytes/workgroup (compile time only)
; SGPRBlocks: 4
; VGPRBlocks: 17
; NumSGPRsForWavesPerEU: 36
; NumVGPRsForWavesPerEU: 70
; Occupancy: 3
; WaveLimiterHint : 1
; COMPUTE_PGM_RSRC2:SCRATCH_EN: 0
; COMPUTE_PGM_RSRC2:USER_SGPR: 6
; COMPUTE_PGM_RSRC2:TRAP_HANDLER: 0
; COMPUTE_PGM_RSRC2:TGID_X_EN: 1
; COMPUTE_PGM_RSRC2:TGID_Y_EN: 0
; COMPUTE_PGM_RSRC2:TGID_Z_EN: 0
; COMPUTE_PGM_RSRC2:TIDIG_COMP_CNT: 0
	.type	__hip_cuid_1d7c4c5678eca189,@object ; @__hip_cuid_1d7c4c5678eca189
	.section	.bss,"aw",@nobits
	.globl	__hip_cuid_1d7c4c5678eca189
__hip_cuid_1d7c4c5678eca189:
	.byte	0                               ; 0x0
	.size	__hip_cuid_1d7c4c5678eca189, 1

	.ident	"AMD clang version 19.0.0git (https://github.com/RadeonOpenCompute/llvm-project roc-6.4.0 25133 c7fe45cf4b819c5991fe208aaa96edf142730f1d)"
	.section	".note.GNU-stack","",@progbits
	.addrsig
	.addrsig_sym __hip_cuid_1d7c4c5678eca189
	.amdgpu_metadata
---
amdhsa.kernels:
  - .args:
      - .actual_access:  read_only
        .address_space:  global
        .offset:         0
        .size:           8
        .value_kind:     global_buffer
      - .offset:         8
        .size:           8
        .value_kind:     by_value
      - .actual_access:  read_only
        .address_space:  global
        .offset:         16
        .size:           8
        .value_kind:     global_buffer
      - .actual_access:  read_only
        .address_space:  global
        .offset:         24
        .size:           8
        .value_kind:     global_buffer
      - .actual_access:  read_only
        .address_space:  global
        .offset:         32
        .size:           8
        .value_kind:     global_buffer
      - .offset:         40
        .size:           8
        .value_kind:     by_value
      - .actual_access:  read_only
        .address_space:  global
        .offset:         48
        .size:           8
        .value_kind:     global_buffer
      - .actual_access:  read_only
        .address_space:  global
        .offset:         56
        .size:           8
        .value_kind:     global_buffer
      - .offset:         64
        .size:           4
        .value_kind:     by_value
      - .actual_access:  read_only
        .address_space:  global
        .offset:         72
        .size:           8
        .value_kind:     global_buffer
      - .actual_access:  read_only
        .address_space:  global
        .offset:         80
        .size:           8
        .value_kind:     global_buffer
      - .actual_access:  read_only
        .address_space:  global
        .offset:         88
        .size:           8
        .value_kind:     global_buffer
      - .actual_access:  write_only
        .address_space:  global
        .offset:         96
        .size:           8
        .value_kind:     global_buffer
    .group_segment_fixed_size: 0
    .kernarg_segment_align: 8
    .kernarg_segment_size: 104
    .language:       OpenCL C
    .language_version:
      - 2
      - 0
    .max_flat_workgroup_size: 121
    .name:           fft_rtc_back_len121_factors_11_11_wgs_121_tpt_11_half_op_CI_CI_sbrc_xy_z_unaligned_dirReg
    .private_segment_fixed_size: 0
    .sgpr_count:     36
    .sgpr_spill_count: 0
    .symbol:         fft_rtc_back_len121_factors_11_11_wgs_121_tpt_11_half_op_CI_CI_sbrc_xy_z_unaligned_dirReg.kd
    .uniform_work_group_size: 1
    .uses_dynamic_stack: false
    .vgpr_count:     70
    .vgpr_spill_count: 0
    .wavefront_size: 64
amdhsa.target:   amdgcn-amd-amdhsa--gfx906
amdhsa.version:
  - 1
  - 2
...

	.end_amdgpu_metadata
